;; amdgpu-corpus repo=ROCm/rocFFT kind=compiled arch=gfx1030 opt=O3
	.text
	.amdgcn_target "amdgcn-amd-amdhsa--gfx1030"
	.amdhsa_code_object_version 6
	.protected	fft_rtc_fwd_len88_factors_11_8_wgs_121_tpt_11_halfLds_sp_ip_CI_sbrr_dirReg ; -- Begin function fft_rtc_fwd_len88_factors_11_8_wgs_121_tpt_11_halfLds_sp_ip_CI_sbrr_dirReg
	.globl	fft_rtc_fwd_len88_factors_11_8_wgs_121_tpt_11_halfLds_sp_ip_CI_sbrr_dirReg
	.p2align	8
	.type	fft_rtc_fwd_len88_factors_11_8_wgs_121_tpt_11_halfLds_sp_ip_CI_sbrr_dirReg,@function
fft_rtc_fwd_len88_factors_11_8_wgs_121_tpt_11_halfLds_sp_ip_CI_sbrr_dirReg: ; @fft_rtc_fwd_len88_factors_11_8_wgs_121_tpt_11_halfLds_sp_ip_CI_sbrr_dirReg
; %bb.0:
	s_clause 0x1
	s_load_dwordx2 s[14:15], s[4:5], 0x18
	s_load_dwordx4 s[8:11], s[4:5], 0x0
	v_mul_u32_u24_e32 v1, 0x1746, v0
	v_mov_b32_e32 v5, 0
	s_load_dwordx2 s[12:13], s[4:5], 0x50
	s_waitcnt lgkmcnt(0)
	s_load_dwordx2 s[2:3], s[14:15], 0x0
	v_lshrrev_b32_e32 v1, 16, v1
	v_cmp_lt_u64_e64 s0, s[10:11], 2
	v_mad_u64_u32 v[3:4], null, s6, 11, v[1:2]
	v_mov_b32_e32 v4, v5
	v_mov_b32_e32 v1, 0
	;; [unrolled: 1-line block ×3, first 2 shown]
	s_and_b32 vcc_lo, exec_lo, s0
	v_mov_b32_e32 v10, v4
	v_mov_b32_e32 v9, v3
	s_cbranch_vccnz .LBB0_8
; %bb.1:
	s_load_dwordx2 s[0:1], s[4:5], 0x10
	v_mov_b32_e32 v1, 0
	v_mov_b32_e32 v8, v4
	s_add_u32 s6, s14, 8
	v_mov_b32_e32 v2, 0
	v_mov_b32_e32 v7, v3
	s_addc_u32 s7, s15, 0
	s_mov_b64 s[18:19], 1
	s_waitcnt lgkmcnt(0)
	s_add_u32 s16, s0, 8
	s_addc_u32 s17, s1, 0
.LBB0_2:                                ; =>This Inner Loop Header: Depth=1
	s_load_dwordx2 s[20:21], s[16:17], 0x0
                                        ; implicit-def: $vgpr9_vgpr10
	s_mov_b32 s0, exec_lo
	s_waitcnt lgkmcnt(0)
	v_or_b32_e32 v6, s21, v8
	v_cmpx_ne_u64_e32 0, v[5:6]
	s_xor_b32 s1, exec_lo, s0
	s_cbranch_execz .LBB0_4
; %bb.3:                                ;   in Loop: Header=BB0_2 Depth=1
	v_cvt_f32_u32_e32 v4, s20
	v_cvt_f32_u32_e32 v6, s21
	s_sub_u32 s0, 0, s20
	s_subb_u32 s22, 0, s21
	v_fmac_f32_e32 v4, 0x4f800000, v6
	v_rcp_f32_e32 v4, v4
	v_mul_f32_e32 v4, 0x5f7ffffc, v4
	v_mul_f32_e32 v6, 0x2f800000, v4
	v_trunc_f32_e32 v6, v6
	v_fmac_f32_e32 v4, 0xcf800000, v6
	v_cvt_u32_f32_e32 v6, v6
	v_cvt_u32_f32_e32 v4, v4
	v_mul_lo_u32 v9, s0, v6
	v_mul_hi_u32 v10, s0, v4
	v_mul_lo_u32 v11, s22, v4
	v_add_nc_u32_e32 v9, v10, v9
	v_mul_lo_u32 v10, s0, v4
	v_add_nc_u32_e32 v9, v9, v11
	v_mul_hi_u32 v11, v4, v10
	v_mul_lo_u32 v12, v4, v9
	v_mul_hi_u32 v13, v4, v9
	v_mul_hi_u32 v14, v6, v10
	v_mul_lo_u32 v10, v6, v10
	v_mul_hi_u32 v15, v6, v9
	v_mul_lo_u32 v9, v6, v9
	v_add_co_u32 v11, vcc_lo, v11, v12
	v_add_co_ci_u32_e32 v12, vcc_lo, 0, v13, vcc_lo
	v_add_co_u32 v10, vcc_lo, v11, v10
	v_add_co_ci_u32_e32 v10, vcc_lo, v12, v14, vcc_lo
	v_add_co_ci_u32_e32 v11, vcc_lo, 0, v15, vcc_lo
	v_add_co_u32 v9, vcc_lo, v10, v9
	v_add_co_ci_u32_e32 v10, vcc_lo, 0, v11, vcc_lo
	v_add_co_u32 v4, vcc_lo, v4, v9
	v_add_co_ci_u32_e32 v6, vcc_lo, v6, v10, vcc_lo
	v_mul_hi_u32 v9, s0, v4
	v_mul_lo_u32 v11, s22, v4
	v_mul_lo_u32 v10, s0, v6
	v_add_nc_u32_e32 v9, v9, v10
	v_mul_lo_u32 v10, s0, v4
	v_add_nc_u32_e32 v9, v9, v11
	v_mul_hi_u32 v11, v4, v10
	v_mul_lo_u32 v12, v4, v9
	v_mul_hi_u32 v13, v4, v9
	v_mul_hi_u32 v14, v6, v10
	v_mul_lo_u32 v10, v6, v10
	v_mul_hi_u32 v15, v6, v9
	v_mul_lo_u32 v9, v6, v9
	v_add_co_u32 v11, vcc_lo, v11, v12
	v_add_co_ci_u32_e32 v12, vcc_lo, 0, v13, vcc_lo
	v_add_co_u32 v10, vcc_lo, v11, v10
	v_add_co_ci_u32_e32 v10, vcc_lo, v12, v14, vcc_lo
	v_add_co_ci_u32_e32 v11, vcc_lo, 0, v15, vcc_lo
	v_add_co_u32 v9, vcc_lo, v10, v9
	v_add_co_ci_u32_e32 v10, vcc_lo, 0, v11, vcc_lo
	v_add_co_u32 v4, vcc_lo, v4, v9
	v_add_co_ci_u32_e32 v6, vcc_lo, v6, v10, vcc_lo
	v_mul_hi_u32 v15, v7, v4
	v_mad_u64_u32 v[11:12], null, v8, v4, 0
	v_mad_u64_u32 v[9:10], null, v7, v6, 0
	v_mad_u64_u32 v[13:14], null, v8, v6, 0
	v_add_co_u32 v4, vcc_lo, v15, v9
	v_add_co_ci_u32_e32 v6, vcc_lo, 0, v10, vcc_lo
	v_add_co_u32 v4, vcc_lo, v4, v11
	v_add_co_ci_u32_e32 v4, vcc_lo, v6, v12, vcc_lo
	v_add_co_ci_u32_e32 v6, vcc_lo, 0, v14, vcc_lo
	v_add_co_u32 v4, vcc_lo, v4, v13
	v_add_co_ci_u32_e32 v6, vcc_lo, 0, v6, vcc_lo
	v_mul_lo_u32 v11, s21, v4
	v_mad_u64_u32 v[9:10], null, s20, v4, 0
	v_mul_lo_u32 v12, s20, v6
	v_sub_co_u32 v9, vcc_lo, v7, v9
	v_add3_u32 v10, v10, v12, v11
	v_sub_nc_u32_e32 v11, v8, v10
	v_subrev_co_ci_u32_e64 v11, s0, s21, v11, vcc_lo
	v_add_co_u32 v12, s0, v4, 2
	v_add_co_ci_u32_e64 v13, s0, 0, v6, s0
	v_sub_co_u32 v14, s0, v9, s20
	v_sub_co_ci_u32_e32 v10, vcc_lo, v8, v10, vcc_lo
	v_subrev_co_ci_u32_e64 v11, s0, 0, v11, s0
	v_cmp_le_u32_e32 vcc_lo, s20, v14
	v_cmp_eq_u32_e64 s0, s21, v10
	v_cndmask_b32_e64 v14, 0, -1, vcc_lo
	v_cmp_le_u32_e32 vcc_lo, s21, v11
	v_cndmask_b32_e64 v15, 0, -1, vcc_lo
	v_cmp_le_u32_e32 vcc_lo, s20, v9
	;; [unrolled: 2-line block ×3, first 2 shown]
	v_cndmask_b32_e64 v16, 0, -1, vcc_lo
	v_cmp_eq_u32_e32 vcc_lo, s21, v11
	v_cndmask_b32_e64 v9, v16, v9, s0
	v_cndmask_b32_e32 v11, v15, v14, vcc_lo
	v_add_co_u32 v14, vcc_lo, v4, 1
	v_add_co_ci_u32_e32 v15, vcc_lo, 0, v6, vcc_lo
	v_cmp_ne_u32_e32 vcc_lo, 0, v11
	v_cndmask_b32_e32 v10, v15, v13, vcc_lo
	v_cndmask_b32_e32 v11, v14, v12, vcc_lo
	v_cmp_ne_u32_e32 vcc_lo, 0, v9
	v_cndmask_b32_e32 v10, v6, v10, vcc_lo
	v_cndmask_b32_e32 v9, v4, v11, vcc_lo
.LBB0_4:                                ;   in Loop: Header=BB0_2 Depth=1
	s_andn2_saveexec_b32 s0, s1
	s_cbranch_execz .LBB0_6
; %bb.5:                                ;   in Loop: Header=BB0_2 Depth=1
	v_cvt_f32_u32_e32 v4, s20
	s_sub_i32 s1, 0, s20
	v_rcp_iflag_f32_e32 v4, v4
	v_mul_f32_e32 v4, 0x4f7ffffe, v4
	v_cvt_u32_f32_e32 v4, v4
	v_mul_lo_u32 v6, s1, v4
	v_mul_hi_u32 v6, v4, v6
	v_add_nc_u32_e32 v4, v4, v6
	v_mul_hi_u32 v4, v7, v4
	v_mul_lo_u32 v6, v4, s20
	v_add_nc_u32_e32 v9, 1, v4
	v_sub_nc_u32_e32 v6, v7, v6
	v_subrev_nc_u32_e32 v10, s20, v6
	v_cmp_le_u32_e32 vcc_lo, s20, v6
	v_cndmask_b32_e32 v6, v6, v10, vcc_lo
	v_cndmask_b32_e32 v4, v4, v9, vcc_lo
	v_mov_b32_e32 v10, v5
	v_cmp_le_u32_e32 vcc_lo, s20, v6
	v_add_nc_u32_e32 v9, 1, v4
	v_cndmask_b32_e32 v9, v4, v9, vcc_lo
.LBB0_6:                                ;   in Loop: Header=BB0_2 Depth=1
	s_or_b32 exec_lo, exec_lo, s0
	s_load_dwordx2 s[0:1], s[6:7], 0x0
	v_mul_lo_u32 v4, v10, s20
	v_mul_lo_u32 v6, v9, s21
	v_mad_u64_u32 v[11:12], null, v9, s20, 0
	s_add_u32 s18, s18, 1
	s_addc_u32 s19, s19, 0
	s_add_u32 s6, s6, 8
	s_addc_u32 s7, s7, 0
	s_add_u32 s16, s16, 8
	s_addc_u32 s17, s17, 0
	v_add3_u32 v4, v12, v6, v4
	v_sub_co_u32 v6, vcc_lo, v7, v11
	v_sub_co_ci_u32_e32 v4, vcc_lo, v8, v4, vcc_lo
	s_waitcnt lgkmcnt(0)
	v_mul_lo_u32 v7, s1, v6
	v_mul_lo_u32 v4, s0, v4
	v_mad_u64_u32 v[1:2], null, s0, v6, v[1:2]
	v_cmp_ge_u64_e64 s0, s[18:19], s[10:11]
	s_and_b32 vcc_lo, exec_lo, s0
	v_add3_u32 v2, v7, v2, v4
	s_cbranch_vccnz .LBB0_8
; %bb.7:                                ;   in Loop: Header=BB0_2 Depth=1
	v_mov_b32_e32 v7, v9
	v_mov_b32_e32 v8, v10
	s_branch .LBB0_2
.LBB0_8:
	s_lshl_b64 s[0:1], s[10:11], 3
	v_mul_hi_u32 v4, 0x1745d175, v0
	s_add_u32 s0, s14, s0
	s_addc_u32 s1, s15, s1
	v_mov_b32_e32 v5, 0
	s_load_dwordx2 s[0:1], s[0:1], 0x0
	s_load_dwordx2 s[4:5], s[4:5], 0x20
	v_mov_b32_e32 v30, 0
                                        ; implicit-def: $vgpr23
                                        ; implicit-def: $vgpr17
                                        ; implicit-def: $vgpr13
                                        ; implicit-def: $vgpr11
                                        ; implicit-def: $vgpr27
                                        ; implicit-def: $vgpr29
                                        ; implicit-def: $vgpr25
                                        ; implicit-def: $vgpr15
	v_mul_u32_u24_e32 v4, 11, v4
	v_sub_nc_u32_e32 v0, v0, v4
	v_mov_b32_e32 v4, 0
	s_waitcnt lgkmcnt(0)
	v_mul_lo_u32 v6, s0, v10
	v_mul_lo_u32 v7, s1, v9
	v_mad_u64_u32 v[1:2], null, s0, v9, v[1:2]
	v_cmp_gt_u64_e32 vcc_lo, s[4:5], v[9:10]
                                        ; implicit-def: $vgpr9
	v_add3_u32 v2, v7, v2, v6
                                        ; implicit-def: $vgpr7
	s_and_saveexec_b32 s1, vcc_lo
	s_cbranch_execz .LBB0_12
; %bb.9:
	v_mov_b32_e32 v4, 0
	v_mov_b32_e32 v5, 0
	s_mov_b32 s4, exec_lo
                                        ; implicit-def: $vgpr14
                                        ; implicit-def: $vgpr24
                                        ; implicit-def: $vgpr28
                                        ; implicit-def: $vgpr26
                                        ; implicit-def: $vgpr10
                                        ; implicit-def: $vgpr8
                                        ; implicit-def: $vgpr12
                                        ; implicit-def: $vgpr6
                                        ; implicit-def: $vgpr16
                                        ; implicit-def: $vgpr22
	v_cmpx_gt_u32_e32 8, v0
	s_cbranch_execz .LBB0_11
; %bb.10:
	v_or_b32_e32 v15, 8, v0
	v_or_b32_e32 v17, 16, v0
	v_mad_u64_u32 v[4:5], null, s2, v0, 0
	v_or_b32_e32 v18, 24, v0
	v_mad_u64_u32 v[6:7], null, s2, v15, 0
	v_mad_u64_u32 v[8:9], null, s2, v17, 0
	;; [unrolled: 1-line block ×3, first 2 shown]
	v_or_b32_e32 v21, 48, v0
	v_or_b32_e32 v26, 56, v0
	v_mad_u64_u32 v[10:11], null, s3, v0, v[5:6]
	v_mov_b32_e32 v5, v7
	v_lshlrev_b64 v[11:12], 3, v[1:2]
	v_mov_b32_e32 v7, v9
	v_or_b32_e32 v27, 64, v0
	v_or_b32_e32 v34, 0x50, v0
	v_mad_u64_u32 v[15:16], null, s3, v15, v[5:6]
	v_add_co_u32 v32, s0, s12, v11
	v_add_co_ci_u32_e64 v33, s0, s13, v12, s0
	v_mad_u64_u32 v[11:12], null, s3, v17, v[7:8]
	v_mov_b32_e32 v5, v10
	v_mov_b32_e32 v10, v14
	;; [unrolled: 1-line block ×3, first 2 shown]
	v_or_b32_e32 v15, 32, v0
	v_or_b32_e32 v16, 40, v0
	v_lshlrev_b64 v[4:5], 3, v[4:5]
	v_mov_b32_e32 v9, v11
	v_mad_u64_u32 v[10:11], null, s3, v18, v[10:11]
	v_mad_u64_u32 v[11:12], null, s2, v15, 0
	v_lshlrev_b64 v[6:7], 3, v[6:7]
	v_mad_u64_u32 v[18:19], null, s2, v16, 0
	v_add_co_u32 v4, s0, v32, v4
	v_mov_b32_e32 v14, v10
	v_mov_b32_e32 v10, v12
	v_lshlrev_b64 v[8:9], 3, v[8:9]
	v_add_co_ci_u32_e64 v5, s0, v33, v5, s0
	v_add_co_u32 v6, s0, v32, v6
	v_lshlrev_b64 v[12:13], 3, v[13:14]
	v_mad_u64_u32 v[14:15], null, s3, v15, v[10:11]
	v_add_co_ci_u32_e64 v7, s0, v33, v7, s0
	v_add_co_u32 v8, s0, v32, v8
	v_mov_b32_e32 v10, v19
	v_add_co_ci_u32_e64 v9, s0, v33, v9, s0
	v_add_co_u32 v19, s0, v32, v12
	v_add_co_ci_u32_e64 v20, s0, v33, v13, s0
	v_mov_b32_e32 v12, v14
	v_mad_u64_u32 v[13:14], null, s3, v16, v[10:11]
	v_mad_u64_u32 v[14:15], null, s2, v21, 0
	s_clause 0x3
	global_load_dwordx2 v[4:5], v[4:5], off
	global_load_dwordx2 v[22:23], v[6:7], off
	;; [unrolled: 1-line block ×4, first 2 shown]
	v_lshlrev_b64 v[8:9], 3, v[11:12]
	v_mad_u64_u32 v[11:12], null, s2, v26, 0
	v_mad_u64_u32 v[24:25], null, s2, v27, 0
	v_mov_b32_e32 v10, v15
	v_mov_b32_e32 v19, v13
	v_add_co_u32 v8, s0, v32, v8
	v_add_co_ci_u32_e64 v9, s0, v33, v9, s0
	v_mad_u64_u32 v[20:21], null, s3, v21, v[10:11]
	v_mov_b32_e32 v10, v12
	v_or_b32_e32 v21, 0x48, v0
	v_lshlrev_b64 v[12:13], 3, v[18:19]
	v_mad_u64_u32 v[18:19], null, s3, v26, v[10:11]
	v_mov_b32_e32 v15, v20
	v_mov_b32_e32 v10, v25
	v_mad_u64_u32 v[19:20], null, s2, v21, 0
	v_add_co_u32 v28, s0, v32, v12
	v_mad_u64_u32 v[25:26], null, s3, v27, v[10:11]
	v_mad_u64_u32 v[26:27], null, s2, v34, 0
	v_mov_b32_e32 v10, v20
	v_mov_b32_e32 v12, v18
	v_add_co_ci_u32_e64 v29, s0, v33, v13, s0
	v_lshlrev_b64 v[13:14], 3, v[14:15]
	v_mad_u64_u32 v[20:21], null, s3, v21, v[10:11]
	v_lshlrev_b64 v[11:12], 3, v[11:12]
	v_mov_b32_e32 v10, v27
	v_add_co_u32 v30, s0, v32, v13
	v_add_co_ci_u32_e64 v31, s0, v33, v14, s0
	v_mad_u64_u32 v[13:14], null, s3, v34, v[10:11]
	v_lshlrev_b64 v[14:15], 3, v[24:25]
	v_add_co_u32 v24, s0, v32, v11
	v_lshlrev_b64 v[10:11], 3, v[19:20]
	v_add_co_ci_u32_e64 v25, s0, v33, v12, s0
	v_mov_b32_e32 v27, v13
	v_add_co_u32 v18, s0, v32, v14
	v_add_co_ci_u32_e64 v19, s0, v33, v15, s0
	v_lshlrev_b64 v[12:13], 3, v[26:27]
	v_add_co_u32 v20, s0, v32, v10
	v_add_co_ci_u32_e64 v21, s0, v33, v11, s0
	v_add_co_u32 v26, s0, v32, v12
	v_add_co_ci_u32_e64 v27, s0, v33, v13, s0
	s_clause 0x6
	global_load_dwordx2 v[12:13], v[8:9], off
	global_load_dwordx2 v[8:9], v[28:29], off
	;; [unrolled: 1-line block ×7, first 2 shown]
.LBB0_11:
	s_or_b32 exec_lo, exec_lo, s4
	v_mov_b32_e32 v30, v0
.LBB0_12:
	s_or_b32 exec_lo, exec_lo, s1
	v_mul_hi_u32 v18, 0xba2e8ba3, v3
	v_cmp_gt_u32_e64 s0, 8, v0
	v_lshrrev_b32_e32 v18, 3, v18
	v_mul_lo_u32 v18, v18, 11
	v_sub_nc_u32_e32 v3, v3, v18
	v_mul_u32_u24_e32 v3, 0x58, v3
	v_lshlrev_b32_e32 v33, 2, v3
	s_and_saveexec_b32 s1, s0
	s_cbranch_execz .LBB0_14
; %bb.13:
	s_waitcnt vmcnt(0)
	v_sub_f32_e32 v3, v23, v27
	v_add_f32_e32 v18, v22, v26
	v_sub_f32_e32 v20, v17, v29
	v_add_f32_e32 v19, v16, v28
	v_sub_f32_e32 v32, v7, v25
	v_mul_f32_e32 v31, 0xbe903f40, v3
	v_add_f32_e32 v21, v6, v24
	v_mul_f32_e32 v36, 0x3f0a6770, v20
	v_sub_f32_e32 v35, v13, v15
	v_mul_f32_e32 v40, 0xbf4178ce, v32
	v_fmamk_f32 v37, v18, 0xbf75a155, v31
	v_fma_f32 v31, 0xbf75a155, v18, -v31
	v_fmamk_f32 v41, v19, 0x3f575c64, v36
	v_fma_f32 v36, 0x3f575c64, v19, -v36
	v_add_f32_e32 v34, v12, v14
	v_add_f32_e32 v37, v4, v37
	v_add_f32_e32 v31, v4, v31
	v_sub_f32_e32 v39, v9, v11
	v_mul_f32_e32 v42, 0x3f68dda4, v35
	v_mul_f32_e32 v44, 0xbf4178ce, v3
	v_fmamk_f32 v45, v21, 0xbf27a4f4, v40
	v_add_f32_e32 v37, v37, v41
	v_fma_f32 v40, 0xbf27a4f4, v21, -v40
	v_add_f32_e32 v31, v31, v36
	v_add_f32_e32 v38, v8, v10
	v_mul_f32_e32 v43, 0xbf7d64f0, v39
	v_mul_f32_e32 v41, 0x3f7d64f0, v20
	v_fmamk_f32 v46, v34, 0x3ed4b147, v42
	v_add_f32_e32 v37, v37, v45
	v_fmamk_f32 v47, v18, 0xbf27a4f4, v44
	v_add_f32_e32 v31, v31, v40
	v_fma_f32 v40, 0xbf27a4f4, v18, -v44
	v_fmamk_f32 v45, v38, 0xbe11bafb, v43
	v_add_f32_e32 v37, v37, v46
	v_mul_f32_e32 v36, 0xbf0a6770, v32
	v_fmamk_f32 v46, v19, 0xbe11bafb, v41
	v_add_f32_e32 v47, v4, v47
	v_add_f32_e32 v40, v4, v40
	v_fma_f32 v41, 0xbe11bafb, v19, -v41
	v_add_f32_e32 v37, v45, v37
	v_fma_f32 v42, 0x3ed4b147, v34, -v42
	v_add_f32_e32 v44, v47, v46
	v_fmamk_f32 v45, v21, 0x3f575c64, v36
	v_mul_f32_e32 v46, 0xbe903f40, v35
	v_add_f32_e32 v40, v40, v41
	v_fma_f32 v36, 0x3f575c64, v21, -v36
	v_add_f32_e32 v31, v31, v42
	v_add_f32_e32 v42, v44, v45
	v_fmamk_f32 v44, v34, 0xbf75a155, v46
	v_mul_f32_e32 v45, 0x3f68dda4, v39
	v_fma_f32 v41, 0xbe11bafb, v38, -v43
	v_mul_f32_e32 v43, 0xbf7d64f0, v3
	v_add_f32_e32 v36, v40, v36
	v_fma_f32 v40, 0xbf75a155, v34, -v46
	v_add_f32_e32 v42, v42, v44
	v_fmamk_f32 v44, v38, 0x3ed4b147, v45
	v_add_f32_e32 v31, v41, v31
	v_fmamk_f32 v41, v18, 0xbe11bafb, v43
	v_mul_f32_e32 v46, 0x3e903f40, v20
	v_add_f32_e32 v36, v36, v40
	v_fma_f32 v40, 0xbe11bafb, v18, -v43
	v_add_f32_e32 v42, v44, v42
	v_add_f32_e32 v41, v4, v41
	v_fmamk_f32 v43, v19, 0xbf75a155, v46
	v_mul_f32_e32 v44, 0x3f68dda4, v32
	v_add_f32_e32 v40, v4, v40
	v_fma_f32 v46, 0xbf75a155, v19, -v46
	v_fma_f32 v45, 0x3ed4b147, v38, -v45
	v_add_f32_e32 v41, v41, v43
	v_fmamk_f32 v43, v21, 0x3ed4b147, v44
	v_mul_f32_e32 v47, 0xbf0a6770, v35
	v_add_f32_e32 v40, v40, v46
	v_fma_f32 v44, 0x3ed4b147, v21, -v44
	v_add_f32_e32 v36, v45, v36
	v_add_f32_e32 v41, v41, v43
	v_fmamk_f32 v43, v34, 0x3f575c64, v47
	v_mul_f32_e32 v45, 0xbf4178ce, v39
	v_mul_f32_e32 v46, 0xbf68dda4, v3
	v_add_f32_e32 v40, v40, v44
	v_fma_f32 v44, 0x3f575c64, v34, -v47
	v_add_f32_e32 v41, v41, v43
	v_fmamk_f32 v43, v38, 0xbf27a4f4, v45
	v_fmamk_f32 v47, v18, 0x3ed4b147, v46
	v_mul_f32_e32 v48, 0xbf4178ce, v20
	v_add_f32_e32 v40, v40, v44
	v_fma_f32 v44, 0xbf27a4f4, v38, -v45
	v_fma_f32 v45, 0x3ed4b147, v18, -v46
	v_add_f32_e32 v46, v4, v47
	v_fmamk_f32 v47, v19, 0xbf27a4f4, v48
	v_mul_f32_e32 v49, 0x3e903f40, v32
	v_add_f32_e32 v40, v44, v40
	v_add_f32_e32 v44, v4, v45
	v_fma_f32 v45, 0xbf27a4f4, v19, -v48
	v_add_f32_e32 v50, v4, v22
	v_add_f32_e32 v46, v46, v47
	v_fmamk_f32 v47, v21, 0xbf75a155, v49
	v_mul_f32_e32 v48, 0x3f7d64f0, v35
	v_add_f32_e32 v44, v44, v45
	v_fma_f32 v45, 0xbf75a155, v21, -v49
	v_add_f32_e32 v49, v50, v16
	v_add_f32_e32 v46, v46, v47
	v_fmamk_f32 v47, v34, 0xbe11bafb, v48
	v_mul_f32_e32 v3, 0xbf0a6770, v3
	v_add_f32_e32 v44, v44, v45
	v_fma_f32 v45, 0xbe11bafb, v34, -v48
	v_add_f32_e32 v48, v49, v6
	v_mul_f32_e32 v20, 0xbf68dda4, v20
	v_mul_f32_e32 v32, 0xbf7d64f0, v32
	;; [unrolled: 1-line block ×3, first 2 shown]
	v_add_f32_e32 v44, v44, v45
	v_fma_f32 v45, 0x3f575c64, v18, -v3
	v_add_f32_e32 v48, v48, v12
	v_fmamk_f32 v3, v18, 0x3f575c64, v3
	v_mul_f32_e32 v50, 0x3f0a6770, v39
	v_add_f32_e32 v46, v46, v47
	v_add_f32_e32 v18, v4, v45
	;; [unrolled: 1-line block ×3, first 2 shown]
	v_fma_f32 v48, 0x3ed4b147, v19, -v20
	v_add_f32_e32 v3, v4, v3
	v_fmamk_f32 v4, v19, 0x3ed4b147, v20
	v_fma_f32 v20, 0xbe11bafb, v21, -v32
	v_add_f32_e32 v19, v45, v10
	v_add_f32_e32 v18, v18, v48
	v_fma_f32 v49, 0x3f575c64, v38, -v50
	v_add_f32_e32 v3, v3, v4
	v_fmamk_f32 v47, v38, 0x3f575c64, v50
	v_add_f32_e32 v4, v19, v14
	v_fmamk_f32 v19, v21, 0xbe11bafb, v32
	v_add_f32_e32 v18, v18, v20
	v_fma_f32 v20, 0xbf27a4f4, v34, -v35
	v_mul_f32_e32 v21, 0xbe903f40, v39
	v_add_f32_e32 v4, v24, v4
	v_add_f32_e32 v3, v3, v19
	v_fmamk_f32 v19, v34, 0xbf27a4f4, v35
	v_add_f32_e32 v18, v18, v20
	v_fma_f32 v20, 0xbf75a155, v38, -v21
	v_add_f32_e32 v4, v28, v4
	v_mul_u32_u24_e32 v32, 44, v0
	v_add_f32_e32 v3, v3, v19
	v_fmamk_f32 v19, v38, 0xbf75a155, v21
	v_add_f32_e32 v18, v20, v18
	v_add_f32_e32 v4, v26, v4
	v_add3_u32 v20, 0, v32, v33
	v_add_f32_e32 v21, v49, v44
	v_add_f32_e32 v32, v43, v41
	;; [unrolled: 1-line block ×4, first 2 shown]
	ds_write2_b32 v20, v4, v18 offset1:1
	ds_write2_b32 v20, v21, v40 offset0:2 offset1:3
	ds_write2_b32 v20, v36, v31 offset0:4 offset1:5
	;; [unrolled: 1-line block ×4, first 2 shown]
	ds_write_b32 v20, v3 offset:40
.LBB0_14:
	s_or_b32 exec_lo, exec_lo, s1
	v_lshlrev_b32_e32 v3, 2, v0
	s_waitcnt vmcnt(0) lgkmcnt(0)
	s_barrier
	buffer_gl0_inv
	v_add_nc_u32_e32 v36, 0, v3
	v_add3_u32 v35, 0, v33, v3
	v_add_nc_u32_e32 v34, v36, v33
	ds_read2_b32 v[20:21], v34 offset0:11 offset1:22
	ds_read2_b32 v[3:4], v34 offset0:33 offset1:44
	;; [unrolled: 1-line block ×3, first 2 shown]
	ds_read_b32 v31, v35
	ds_read_b32 v32, v34 offset:308
	s_waitcnt lgkmcnt(0)
	s_barrier
	buffer_gl0_inv
	s_and_saveexec_b32 s1, s0
	s_cbranch_execz .LBB0_16
; %bb.15:
	v_add_f32_e32 v37, v5, v23
	v_sub_f32_e32 v22, v22, v26
	v_add_f32_e32 v26, v17, v29
	v_add_f32_e32 v23, v23, v27
	v_sub_f32_e32 v16, v16, v28
	v_add_f32_e32 v17, v37, v17
	v_mul_f32_e32 v28, 0xbf0a6770, v22
	v_mul_f32_e32 v37, 0xbf68dda4, v22
	;; [unrolled: 1-line block ×4, first 2 shown]
	v_add_f32_e32 v17, v17, v7
	v_mul_f32_e32 v22, 0xbe903f40, v22
	v_mul_f32_e32 v40, 0xbf68dda4, v16
	v_fmamk_f32 v43, v23, 0x3f575c64, v28
	v_mul_f32_e32 v41, 0xbf4178ce, v16
	v_add_f32_e32 v17, v17, v13
	v_fma_f32 v28, 0x3f575c64, v23, -v28
	v_fmamk_f32 v44, v23, 0x3ed4b147, v37
	v_fma_f32 v37, 0x3ed4b147, v23, -v37
	v_fmamk_f32 v45, v23, 0xbe11bafb, v38
	v_add_f32_e32 v17, v17, v9
	v_fma_f32 v38, 0xbe11bafb, v23, -v38
	v_fmamk_f32 v46, v23, 0xbf27a4f4, v39
	v_fma_f32 v39, 0xbf27a4f4, v23, -v39
	v_fmamk_f32 v47, v23, 0xbf75a155, v22
	v_add_f32_e32 v17, v17, v11
	v_fma_f32 v22, 0xbf75a155, v23, -v22
	v_fmamk_f32 v23, v26, 0x3ed4b147, v40
	v_add_f32_e32 v43, v5, v43
	v_mul_f32_e32 v42, 0x3e903f40, v16
	v_add_f32_e32 v17, v17, v15
	v_add_f32_e32 v28, v5, v28
	;; [unrolled: 1-line block ×8, first 2 shown]
	v_fmamk_f32 v48, v26, 0xbf27a4f4, v41
	v_sub_f32_e32 v6, v6, v24
	v_add_f32_e32 v17, v29, v17
	v_add_f32_e32 v29, v5, v39
	;; [unrolled: 1-line block ×5, first 2 shown]
	v_fma_f32 v23, 0xbf27a4f4, v26, -v41
	v_fma_f32 v41, 0xbf75a155, v26, -v42
	v_fma_f32 v40, 0x3ed4b147, v26, -v40
	v_add_f32_e32 v7, v7, v25
	v_mul_f32_e32 v25, 0xbf7d64f0, v6
	v_add_f32_e32 v23, v37, v23
	v_mul_f32_e32 v37, 0x3f7d64f0, v16
	v_mul_f32_e32 v16, 0x3f0a6770, v16
	v_add_f32_e32 v38, v38, v41
	v_add_f32_e32 v17, v27, v17
	;; [unrolled: 1-line block ×3, first 2 shown]
	v_fmamk_f32 v24, v26, 0xbe11bafb, v37
	v_fma_f32 v37, 0xbe11bafb, v26, -v37
	v_fmamk_f32 v41, v26, 0x3f575c64, v16
	v_fmamk_f32 v28, v26, 0xbf75a155, v42
	v_fma_f32 v16, 0x3f575c64, v26, -v16
	v_sub_f32_e32 v12, v12, v14
	v_add_f32_e32 v26, v29, v37
	v_add_f32_e32 v29, v39, v41
	v_fmamk_f32 v37, v7, 0xbe11bafb, v25
	v_mul_f32_e32 v39, 0x3e903f40, v6
	v_add_f32_e32 v5, v5, v16
	v_fma_f32 v16, 0xbe11bafb, v7, -v25
	v_mul_f32_e32 v25, 0x3f68dda4, v6
	v_add_f32_e32 v22, v22, v37
	v_fmamk_f32 v37, v7, 0xbf75a155, v39
	v_fma_f32 v39, 0xbf75a155, v7, -v39
	v_add_f32_e32 v28, v45, v28
	v_add_f32_e32 v16, v27, v16
	v_fmamk_f32 v27, v7, 0x3ed4b147, v25
	v_add_f32_e32 v24, v46, v24
	v_add_f32_e32 v23, v23, v39
	v_mul_f32_e32 v39, 0xbf0a6770, v6
	v_fma_f32 v25, 0x3ed4b147, v7, -v25
	v_add_f32_e32 v27, v28, v27
	v_mul_f32_e32 v6, 0xbf4178ce, v6
	v_add_f32_e32 v13, v13, v15
	v_fmamk_f32 v14, v7, 0x3f575c64, v39
	v_fma_f32 v28, 0x3f575c64, v7, -v39
	v_mul_f32_e32 v15, 0xbf4178ce, v12
	v_add_f32_e32 v25, v38, v25
	v_fmamk_f32 v38, v7, 0xbf27a4f4, v6
	v_add_f32_e32 v14, v24, v14
	v_add_f32_e32 v24, v26, v28
	v_fma_f32 v6, 0xbf27a4f4, v7, -v6
	v_fmamk_f32 v7, v13, 0xbf27a4f4, v15
	v_mul_f32_e32 v28, 0x3f7d64f0, v12
	v_fma_f32 v15, 0xbf27a4f4, v13, -v15
	v_add_f32_e32 v40, v44, v48
	v_add_f32_e32 v5, v5, v6
	;; [unrolled: 1-line block ×3, first 2 shown]
	v_fmamk_f32 v22, v13, 0xbe11bafb, v28
	v_add_f32_e32 v15, v16, v15
	v_fma_f32 v16, 0xbe11bafb, v13, -v28
	v_mul_f32_e32 v28, 0xbe903f40, v12
	v_mul_f32_e32 v7, 0xbf0a6770, v12
	;; [unrolled: 1-line block ×3, first 2 shown]
	v_add_f32_e32 v26, v29, v38
	v_add_f32_e32 v16, v23, v16
	v_fmamk_f32 v23, v13, 0xbf75a155, v28
	v_sub_f32_e32 v8, v8, v10
	v_add_f32_e32 v37, v40, v37
	v_fmamk_f32 v29, v13, 0x3f575c64, v7
	v_fma_f32 v7, 0x3f575c64, v13, -v7
	v_add_f32_e32 v10, v14, v23
	v_fma_f32 v14, 0xbf75a155, v13, -v28
	v_fmamk_f32 v23, v13, 0x3ed4b147, v12
	v_add_f32_e32 v9, v9, v11
	v_mul_f32_e32 v11, 0xbe903f40, v8
	v_fma_f32 v12, 0x3ed4b147, v13, -v12
	v_add_f32_e32 v13, v24, v14
	v_add_f32_e32 v14, v26, v23
	v_mul_f32_e32 v23, 0x3f0a6770, v8
	v_add_f32_e32 v22, v37, v22
	v_add_f32_e32 v7, v25, v7
	v_fmamk_f32 v24, v9, 0xbf75a155, v11
	v_add_f32_e32 v5, v5, v12
	v_mul_f32_e32 v12, 0xbf4178ce, v8
	v_fma_f32 v11, 0xbf75a155, v9, -v11
	v_fmamk_f32 v25, v9, 0x3f575c64, v23
	v_add_f32_e32 v27, v27, v29
	v_add_f32_e32 v6, v24, v6
	v_fma_f32 v23, 0x3f575c64, v9, -v23
	v_fmamk_f32 v24, v9, 0xbf27a4f4, v12
	v_add_f32_e32 v11, v11, v15
	v_add_f32_e32 v15, v25, v22
	v_mul_f32_e32 v22, 0x3f68dda4, v8
	v_mul_f32_e32 v8, 0xbf7d64f0, v8
	v_add_f32_e32 v16, v23, v16
	v_add_f32_e32 v23, v24, v27
	v_mul_u32_u24_e32 v25, 40, v0
	v_fmamk_f32 v24, v9, 0x3ed4b147, v22
	v_fmamk_f32 v26, v9, 0xbe11bafb, v8
	v_fma_f32 v22, 0x3ed4b147, v9, -v22
	v_fma_f32 v8, 0xbe11bafb, v9, -v8
	;; [unrolled: 1-line block ×3, first 2 shown]
	v_add_f32_e32 v9, v24, v10
	v_add3_u32 v10, v36, v25, v33
	v_add_f32_e32 v14, v26, v14
	v_add_f32_e32 v13, v22, v13
	;; [unrolled: 1-line block ×4, first 2 shown]
	ds_write2_b32 v10, v17, v6 offset1:1
	ds_write2_b32 v10, v15, v23 offset0:2 offset1:3
	ds_write2_b32 v10, v9, v14 offset0:4 offset1:5
	;; [unrolled: 1-line block ×4, first 2 shown]
	ds_write_b32 v10, v11 offset:40
.LBB0_16:
	s_or_b32 exec_lo, exec_lo, s1
	s_waitcnt lgkmcnt(0)
	s_barrier
	buffer_gl0_inv
	s_and_saveexec_b32 s0, vcc_lo
	s_cbranch_execz .LBB0_18
; %bb.17:
	v_mul_u32_u24_e32 v0, 7, v0
	v_mad_u64_u32 v[24:25], null, s2, v30, 0
	v_add_nc_u32_e32 v33, 11, v30
	v_add_nc_u32_e32 v46, 22, v30
	v_lshlrev_b32_e32 v0, 3, v0
	v_add_nc_u32_e32 v48, 33, v30
	v_add_nc_u32_e32 v49, 44, v30
	;; [unrolled: 1-line block ×4, first 2 shown]
	s_clause 0x3
	global_load_dwordx4 v[5:8], v0, s[8:9]
	global_load_dwordx4 v[9:12], v0, s[8:9] offset:32
	global_load_dwordx4 v[13:16], v0, s[8:9] offset:16
	global_load_dwordx2 v[22:23], v0, s[8:9] offset:48
	v_lshlrev_b64 v[0:1], 3, v[1:2]
	v_mad_u64_u32 v[26:27], null, s2, v33, 0
	v_mad_u64_u32 v[28:29], null, s2, v46, 0
	v_mov_b32_e32 v2, v25
	v_mad_u64_u32 v[36:37], null, s2, v48, 0
	v_mad_u64_u32 v[38:39], null, s2, v49, 0
	v_add_nc_u32_e32 v52, 0x4d, v30
	v_mad_u64_u32 v[40:41], null, s2, v50, 0
	v_mad_u64_u32 v[42:43], null, s2, v51, 0
	v_add_co_u32 v57, vcc_lo, s12, v0
	v_add_co_ci_u32_e32 v58, vcc_lo, s13, v1, vcc_lo
	v_mad_u64_u32 v[0:1], null, s3, v30, v[2:3]
	v_mov_b32_e32 v1, v27
	v_mov_b32_e32 v2, v29
	v_mad_u64_u32 v[44:45], null, s2, v52, 0
	v_mov_b32_e32 v17, v37
	v_mov_b32_e32 v25, v39
	v_mad_u64_u32 v[29:30], null, s3, v33, v[1:2]
	v_mov_b32_e32 v1, v41
	v_mad_u64_u32 v[46:47], null, s3, v46, v[2:3]
	v_mov_b32_e32 v2, v43
	v_mad_u64_u32 v[47:48], null, s3, v48, v[17:18]
	v_mad_u64_u32 v[48:49], null, s3, v49, v[25:26]
	v_mad_u64_u32 v[49:50], null, s3, v50, v[1:2]
	v_mov_b32_e32 v1, v45
	v_mad_u64_u32 v[50:51], null, s3, v51, v[2:3]
	ds_read2_b32 v[53:54], v34 offset0:55 offset1:66
	v_mov_b32_e32 v25, v0
	v_mad_u64_u32 v[1:2], null, s3, v52, v[1:2]
	ds_read2_b32 v[51:52], v34 offset0:11 offset1:22
	ds_read2_b32 v[55:56], v34 offset0:33 offset1:44
	ds_read_b32 v17, v35
	ds_read_b32 v2, v34 offset:308
	v_mov_b32_e32 v27, v29
	v_mov_b32_e32 v29, v46
	;; [unrolled: 1-line block ×7, first 2 shown]
	v_lshlrev_b64 v[24:25], 3, v[24:25]
	v_lshlrev_b64 v[0:1], 3, v[26:27]
	;; [unrolled: 1-line block ×8, first 2 shown]
	v_add_co_u32 v24, vcc_lo, v57, v24
	v_add_co_ci_u32_e32 v25, vcc_lo, v58, v25, vcc_lo
	v_add_co_u32 v0, vcc_lo, v57, v0
	v_add_co_ci_u32_e32 v1, vcc_lo, v58, v1, vcc_lo
	;; [unrolled: 2-line block ×6, first 2 shown]
	s_waitcnt vmcnt(3) lgkmcnt(3)
	v_mul_f32_e32 v30, v52, v8
	s_waitcnt vmcnt(2)
	v_mul_f32_e32 v41, v54, v12
	s_waitcnt vmcnt(1)
	v_mul_f32_e32 v42, v4, v16
	v_mul_f32_e32 v43, v51, v6
	;; [unrolled: 1-line block ×4, first 2 shown]
	s_waitcnt vmcnt(0)
	v_mul_f32_e32 v46, v32, v23
	s_waitcnt lgkmcnt(2)
	v_mul_f32_e32 v14, v55, v14
	s_waitcnt lgkmcnt(0)
	v_mul_f32_e32 v23, v2, v23
	v_mul_f32_e32 v6, v20, v6
	;; [unrolled: 1-line block ×6, first 2 shown]
	v_fma_f32 v30, v21, v7, -v30
	v_fma_f32 v20, v20, v5, -v43
	v_fma_f32 v19, v19, v11, -v41
	v_fmac_f32_e32 v42, v56, v15
	v_fma_f32 v18, v18, v9, -v44
	v_fmac_f32_e32 v45, v55, v13
	v_fmac_f32_e32 v46, v2, v22
	v_fma_f32 v13, v3, v13, -v14
	v_fma_f32 v2, v32, v22, -v23
	v_fmac_f32_e32 v6, v5, v51
	v_fmac_f32_e32 v10, v9, v53
	v_fma_f32 v3, v4, v15, -v16
	v_fmac_f32_e32 v8, v7, v52
	v_fmac_f32_e32 v12, v11, v54
	v_sub_f32_e32 v4, v30, v19
	v_sub_f32_e32 v7, v17, v42
	;; [unrolled: 1-line block ×8, first 2 shown]
	v_add_f32_e32 v15, v4, v7
	v_sub_f32_e32 v16, v9, v5
	v_add_f32_e32 v18, v10, v11
	v_fma_f32 v17, v17, 2.0, -v7
	v_sub_f32_e32 v19, v14, v12
	v_fma_f32 v8, v8, 2.0, -v12
	v_fma_f32 v12, v20, 2.0, -v9
	;; [unrolled: 1-line block ×7, first 2 shown]
	v_fmamk_f32 v5, v18, 0x3f3504f3, v15
	v_fmamk_f32 v4, v16, 0x3f3504f3, v19
	v_sub_f32_e32 v22, v17, v8
	v_sub_f32_e32 v11, v12, v11
	;; [unrolled: 1-line block ×4, first 2 shown]
	v_add_co_u32 v2, vcc_lo, v57, v37
	v_fma_f32 v30, v7, 2.0, -v15
	v_fma_f32 v31, v9, 2.0, -v16
	;; [unrolled: 1-line block ×4, first 2 shown]
	v_fmac_f32_e32 v5, 0x3f3504f3, v16
	v_fmac_f32_e32 v4, 0xbf3504f3, v18
	v_fma_f32 v18, v17, 2.0, -v22
	v_fma_f32 v14, v21, 2.0, -v23
	;; [unrolled: 1-line block ×4, first 2 shown]
	v_fmamk_f32 v9, v32, 0xbf3504f3, v30
	v_fmamk_f32 v8, v31, 0xbf3504f3, v37
	v_add_f32_e32 v7, v22, v11
	v_fma_f32 v11, v15, 2.0, -v5
	v_sub_f32_e32 v15, v18, v14
	v_sub_f32_e32 v14, v21, v12
	v_fmac_f32_e32 v9, 0x3f3504f3, v31
	v_fmac_f32_e32 v8, 0xbf3504f3, v32
	v_sub_f32_e32 v6, v20, v23
	v_fma_f32 v10, v19, 2.0, -v4
	v_fma_f32 v19, v18, 2.0, -v15
	;; [unrolled: 1-line block ×5, first 2 shown]
	v_add_co_ci_u32_e32 v3, vcc_lo, v58, v38, vcc_lo
	v_fma_f32 v13, v22, 2.0, -v7
	v_fma_f32 v12, v20, 2.0, -v6
	v_add_co_u32 v20, vcc_lo, v57, v39
	v_add_co_ci_u32_e32 v21, vcc_lo, v58, v40, vcc_lo
	global_store_dwordx2 v[24:25], v[18:19], off
	global_store_dwordx2 v[0:1], v[16:17], off
	;; [unrolled: 1-line block ×8, first 2 shown]
.LBB0_18:
	s_endpgm
	.section	.rodata,"a",@progbits
	.p2align	6, 0x0
	.amdhsa_kernel fft_rtc_fwd_len88_factors_11_8_wgs_121_tpt_11_halfLds_sp_ip_CI_sbrr_dirReg
		.amdhsa_group_segment_fixed_size 0
		.amdhsa_private_segment_fixed_size 0
		.amdhsa_kernarg_size 88
		.amdhsa_user_sgpr_count 6
		.amdhsa_user_sgpr_private_segment_buffer 1
		.amdhsa_user_sgpr_dispatch_ptr 0
		.amdhsa_user_sgpr_queue_ptr 0
		.amdhsa_user_sgpr_kernarg_segment_ptr 1
		.amdhsa_user_sgpr_dispatch_id 0
		.amdhsa_user_sgpr_flat_scratch_init 0
		.amdhsa_user_sgpr_private_segment_size 0
		.amdhsa_wavefront_size32 1
		.amdhsa_uses_dynamic_stack 0
		.amdhsa_system_sgpr_private_segment_wavefront_offset 0
		.amdhsa_system_sgpr_workgroup_id_x 1
		.amdhsa_system_sgpr_workgroup_id_y 0
		.amdhsa_system_sgpr_workgroup_id_z 0
		.amdhsa_system_sgpr_workgroup_info 0
		.amdhsa_system_vgpr_workitem_id 0
		.amdhsa_next_free_vgpr 59
		.amdhsa_next_free_sgpr 23
		.amdhsa_reserve_vcc 1
		.amdhsa_reserve_flat_scratch 0
		.amdhsa_float_round_mode_32 0
		.amdhsa_float_round_mode_16_64 0
		.amdhsa_float_denorm_mode_32 3
		.amdhsa_float_denorm_mode_16_64 3
		.amdhsa_dx10_clamp 1
		.amdhsa_ieee_mode 1
		.amdhsa_fp16_overflow 0
		.amdhsa_workgroup_processor_mode 1
		.amdhsa_memory_ordered 1
		.amdhsa_forward_progress 0
		.amdhsa_shared_vgpr_count 0
		.amdhsa_exception_fp_ieee_invalid_op 0
		.amdhsa_exception_fp_denorm_src 0
		.amdhsa_exception_fp_ieee_div_zero 0
		.amdhsa_exception_fp_ieee_overflow 0
		.amdhsa_exception_fp_ieee_underflow 0
		.amdhsa_exception_fp_ieee_inexact 0
		.amdhsa_exception_int_div_zero 0
	.end_amdhsa_kernel
	.text
.Lfunc_end0:
	.size	fft_rtc_fwd_len88_factors_11_8_wgs_121_tpt_11_halfLds_sp_ip_CI_sbrr_dirReg, .Lfunc_end0-fft_rtc_fwd_len88_factors_11_8_wgs_121_tpt_11_halfLds_sp_ip_CI_sbrr_dirReg
                                        ; -- End function
	.section	.AMDGPU.csdata,"",@progbits
; Kernel info:
; codeLenInByte = 5216
; NumSgprs: 25
; NumVgprs: 59
; ScratchSize: 0
; MemoryBound: 0
; FloatMode: 240
; IeeeMode: 1
; LDSByteSize: 0 bytes/workgroup (compile time only)
; SGPRBlocks: 3
; VGPRBlocks: 7
; NumSGPRsForWavesPerEU: 25
; NumVGPRsForWavesPerEU: 59
; Occupancy: 16
; WaveLimiterHint : 1
; COMPUTE_PGM_RSRC2:SCRATCH_EN: 0
; COMPUTE_PGM_RSRC2:USER_SGPR: 6
; COMPUTE_PGM_RSRC2:TRAP_HANDLER: 0
; COMPUTE_PGM_RSRC2:TGID_X_EN: 1
; COMPUTE_PGM_RSRC2:TGID_Y_EN: 0
; COMPUTE_PGM_RSRC2:TGID_Z_EN: 0
; COMPUTE_PGM_RSRC2:TIDIG_COMP_CNT: 0
	.text
	.p2alignl 6, 3214868480
	.fill 48, 4, 3214868480
	.type	__hip_cuid_fb09e087a05746be,@object ; @__hip_cuid_fb09e087a05746be
	.section	.bss,"aw",@nobits
	.globl	__hip_cuid_fb09e087a05746be
__hip_cuid_fb09e087a05746be:
	.byte	0                               ; 0x0
	.size	__hip_cuid_fb09e087a05746be, 1

	.ident	"AMD clang version 19.0.0git (https://github.com/RadeonOpenCompute/llvm-project roc-6.4.0 25133 c7fe45cf4b819c5991fe208aaa96edf142730f1d)"
	.section	".note.GNU-stack","",@progbits
	.addrsig
	.addrsig_sym __hip_cuid_fb09e087a05746be
	.amdgpu_metadata
---
amdhsa.kernels:
  - .args:
      - .actual_access:  read_only
        .address_space:  global
        .offset:         0
        .size:           8
        .value_kind:     global_buffer
      - .offset:         8
        .size:           8
        .value_kind:     by_value
      - .actual_access:  read_only
        .address_space:  global
        .offset:         16
        .size:           8
        .value_kind:     global_buffer
      - .actual_access:  read_only
        .address_space:  global
        .offset:         24
        .size:           8
        .value_kind:     global_buffer
      - .offset:         32
        .size:           8
        .value_kind:     by_value
      - .actual_access:  read_only
        .address_space:  global
        .offset:         40
        .size:           8
        .value_kind:     global_buffer
      - .actual_access:  read_only
        .address_space:  global
        .offset:         48
        .size:           8
        .value_kind:     global_buffer
      - .offset:         56
        .size:           4
        .value_kind:     by_value
      - .actual_access:  read_only
        .address_space:  global
        .offset:         64
        .size:           8
        .value_kind:     global_buffer
      - .actual_access:  read_only
        .address_space:  global
        .offset:         72
        .size:           8
        .value_kind:     global_buffer
      - .address_space:  global
        .offset:         80
        .size:           8
        .value_kind:     global_buffer
    .group_segment_fixed_size: 0
    .kernarg_segment_align: 8
    .kernarg_segment_size: 88
    .language:       OpenCL C
    .language_version:
      - 2
      - 0
    .max_flat_workgroup_size: 121
    .name:           fft_rtc_fwd_len88_factors_11_8_wgs_121_tpt_11_halfLds_sp_ip_CI_sbrr_dirReg
    .private_segment_fixed_size: 0
    .sgpr_count:     25
    .sgpr_spill_count: 0
    .symbol:         fft_rtc_fwd_len88_factors_11_8_wgs_121_tpt_11_halfLds_sp_ip_CI_sbrr_dirReg.kd
    .uniform_work_group_size: 1
    .uses_dynamic_stack: false
    .vgpr_count:     59
    .vgpr_spill_count: 0
    .wavefront_size: 32
    .workgroup_processor_mode: 1
amdhsa.target:   amdgcn-amd-amdhsa--gfx1030
amdhsa.version:
  - 1
  - 2
...

	.end_amdgpu_metadata
